;; amdgpu-corpus repo=ROCm/rocFFT kind=compiled arch=gfx1201 opt=O3
	.text
	.amdgcn_target "amdgcn-amd-amdhsa--gfx1201"
	.amdhsa_code_object_version 6
	.protected	fft_rtc_fwd_len935_factors_17_11_5_wgs_255_tpt_85_halfLds_half_ip_CI_unitstride_sbrr_dirReg ; -- Begin function fft_rtc_fwd_len935_factors_17_11_5_wgs_255_tpt_85_halfLds_half_ip_CI_unitstride_sbrr_dirReg
	.globl	fft_rtc_fwd_len935_factors_17_11_5_wgs_255_tpt_85_halfLds_half_ip_CI_unitstride_sbrr_dirReg
	.p2align	8
	.type	fft_rtc_fwd_len935_factors_17_11_5_wgs_255_tpt_85_halfLds_half_ip_CI_unitstride_sbrr_dirReg,@function
fft_rtc_fwd_len935_factors_17_11_5_wgs_255_tpt_85_halfLds_half_ip_CI_unitstride_sbrr_dirReg: ; @fft_rtc_fwd_len935_factors_17_11_5_wgs_255_tpt_85_halfLds_half_ip_CI_unitstride_sbrr_dirReg
; %bb.0:
	s_load_b128 s[4:7], s[0:1], 0x0
	v_mul_u32_u24_e32 v1, 0x304, v0
	s_clause 0x1
	s_load_b64 s[8:9], s[0:1], 0x50
	s_load_b64 s[10:11], s[0:1], 0x18
	v_mov_b32_e32 v5, 0
	v_lshrrev_b32_e32 v1, 16, v1
	s_delay_alu instid0(VALU_DEP_1) | instskip(SKIP_3) | instid1(VALU_DEP_1)
	v_mad_co_u64_u32 v[1:2], null, ttmp9, 3, v[1:2]
	v_mov_b32_e32 v3, 0
	v_mov_b32_e32 v4, 0
	;; [unrolled: 1-line block ×4, first 2 shown]
	s_wait_kmcnt 0x0
	v_cmp_lt_u64_e64 s2, s[6:7], 2
	v_mov_b32_e32 v9, v1
	s_delay_alu instid0(VALU_DEP_2)
	s_and_b32 vcc_lo, exec_lo, s2
	s_cbranch_vccnz .LBB0_8
; %bb.1:
	s_load_b64 s[2:3], s[0:1], 0x10
	v_dual_mov_b32 v3, 0 :: v_dual_mov_b32 v8, v2
	v_dual_mov_b32 v4, 0 :: v_dual_mov_b32 v7, v1
	s_add_nc_u64 s[12:13], s[10:11], 8
	s_mov_b64 s[14:15], 1
	s_wait_kmcnt 0x0
	s_add_nc_u64 s[16:17], s[2:3], 8
	s_mov_b32 s3, 0
.LBB0_2:                                ; =>This Inner Loop Header: Depth=1
	s_load_b64 s[18:19], s[16:17], 0x0
                                        ; implicit-def: $vgpr9_vgpr10
	s_mov_b32 s2, exec_lo
	s_wait_kmcnt 0x0
	v_or_b32_e32 v6, s19, v8
	s_delay_alu instid0(VALU_DEP_1)
	v_cmpx_ne_u64_e32 0, v[5:6]
	s_wait_alu 0xfffe
	s_xor_b32 s20, exec_lo, s2
	s_cbranch_execz .LBB0_4
; %bb.3:                                ;   in Loop: Header=BB0_2 Depth=1
	s_cvt_f32_u32 s2, s18
	s_cvt_f32_u32 s21, s19
	s_sub_nc_u64 s[24:25], 0, s[18:19]
	s_wait_alu 0xfffe
	s_delay_alu instid0(SALU_CYCLE_1) | instskip(SKIP_1) | instid1(SALU_CYCLE_2)
	s_fmamk_f32 s2, s21, 0x4f800000, s2
	s_wait_alu 0xfffe
	v_s_rcp_f32 s2, s2
	s_delay_alu instid0(TRANS32_DEP_1) | instskip(SKIP_1) | instid1(SALU_CYCLE_2)
	s_mul_f32 s2, s2, 0x5f7ffffc
	s_wait_alu 0xfffe
	s_mul_f32 s21, s2, 0x2f800000
	s_wait_alu 0xfffe
	s_delay_alu instid0(SALU_CYCLE_2) | instskip(SKIP_1) | instid1(SALU_CYCLE_2)
	s_trunc_f32 s21, s21
	s_wait_alu 0xfffe
	s_fmamk_f32 s2, s21, 0xcf800000, s2
	s_cvt_u32_f32 s23, s21
	s_wait_alu 0xfffe
	s_delay_alu instid0(SALU_CYCLE_1) | instskip(SKIP_1) | instid1(SALU_CYCLE_2)
	s_cvt_u32_f32 s22, s2
	s_wait_alu 0xfffe
	s_mul_u64 s[26:27], s[24:25], s[22:23]
	s_wait_alu 0xfffe
	s_mul_hi_u32 s29, s22, s27
	s_mul_i32 s28, s22, s27
	s_mul_hi_u32 s2, s22, s26
	s_mul_i32 s30, s23, s26
	s_wait_alu 0xfffe
	s_add_nc_u64 s[28:29], s[2:3], s[28:29]
	s_mul_hi_u32 s21, s23, s26
	s_mul_hi_u32 s31, s23, s27
	s_add_co_u32 s2, s28, s30
	s_wait_alu 0xfffe
	s_add_co_ci_u32 s2, s29, s21
	s_mul_i32 s26, s23, s27
	s_add_co_ci_u32 s27, s31, 0
	s_wait_alu 0xfffe
	s_add_nc_u64 s[26:27], s[2:3], s[26:27]
	s_wait_alu 0xfffe
	v_add_co_u32 v2, s2, s22, s26
	s_delay_alu instid0(VALU_DEP_1) | instskip(SKIP_1) | instid1(VALU_DEP_1)
	s_cmp_lg_u32 s2, 0
	s_add_co_ci_u32 s23, s23, s27
	v_readfirstlane_b32 s22, v2
	s_wait_alu 0xfffe
	s_delay_alu instid0(VALU_DEP_1)
	s_mul_u64 s[24:25], s[24:25], s[22:23]
	s_wait_alu 0xfffe
	s_mul_hi_u32 s27, s22, s25
	s_mul_i32 s26, s22, s25
	s_mul_hi_u32 s2, s22, s24
	s_mul_i32 s28, s23, s24
	s_wait_alu 0xfffe
	s_add_nc_u64 s[26:27], s[2:3], s[26:27]
	s_mul_hi_u32 s21, s23, s24
	s_mul_hi_u32 s22, s23, s25
	s_wait_alu 0xfffe
	s_add_co_u32 s2, s26, s28
	s_add_co_ci_u32 s2, s27, s21
	s_mul_i32 s24, s23, s25
	s_add_co_ci_u32 s25, s22, 0
	s_wait_alu 0xfffe
	s_add_nc_u64 s[24:25], s[2:3], s[24:25]
	s_wait_alu 0xfffe
	v_add_co_u32 v2, s2, v2, s24
	s_delay_alu instid0(VALU_DEP_1) | instskip(SKIP_1) | instid1(VALU_DEP_1)
	s_cmp_lg_u32 s2, 0
	s_add_co_ci_u32 s2, s23, s25
	v_mul_hi_u32 v6, v7, v2
	s_wait_alu 0xfffe
	v_mad_co_u64_u32 v[9:10], null, v7, s2, 0
	v_mad_co_u64_u32 v[11:12], null, v8, v2, 0
	;; [unrolled: 1-line block ×3, first 2 shown]
	s_delay_alu instid0(VALU_DEP_3) | instskip(SKIP_1) | instid1(VALU_DEP_4)
	v_add_co_u32 v2, vcc_lo, v6, v9
	s_wait_alu 0xfffd
	v_add_co_ci_u32_e32 v6, vcc_lo, 0, v10, vcc_lo
	s_delay_alu instid0(VALU_DEP_2) | instskip(SKIP_1) | instid1(VALU_DEP_2)
	v_add_co_u32 v2, vcc_lo, v2, v11
	s_wait_alu 0xfffd
	v_add_co_ci_u32_e32 v2, vcc_lo, v6, v12, vcc_lo
	s_wait_alu 0xfffd
	v_add_co_ci_u32_e32 v6, vcc_lo, 0, v14, vcc_lo
	s_delay_alu instid0(VALU_DEP_2) | instskip(SKIP_1) | instid1(VALU_DEP_2)
	v_add_co_u32 v2, vcc_lo, v2, v13
	s_wait_alu 0xfffd
	v_add_co_ci_u32_e32 v6, vcc_lo, 0, v6, vcc_lo
	s_delay_alu instid0(VALU_DEP_2) | instskip(SKIP_1) | instid1(VALU_DEP_3)
	v_mul_lo_u32 v11, s19, v2
	v_mad_co_u64_u32 v[9:10], null, s18, v2, 0
	v_mul_lo_u32 v12, s18, v6
	s_delay_alu instid0(VALU_DEP_2) | instskip(NEXT) | instid1(VALU_DEP_2)
	v_sub_co_u32 v9, vcc_lo, v7, v9
	v_add3_u32 v10, v10, v12, v11
	s_delay_alu instid0(VALU_DEP_1) | instskip(SKIP_1) | instid1(VALU_DEP_1)
	v_sub_nc_u32_e32 v11, v8, v10
	s_wait_alu 0xfffd
	v_subrev_co_ci_u32_e64 v11, s2, s19, v11, vcc_lo
	v_add_co_u32 v12, s2, v2, 2
	s_wait_alu 0xf1ff
	v_add_co_ci_u32_e64 v13, s2, 0, v6, s2
	v_sub_co_u32 v14, s2, v9, s18
	v_sub_co_ci_u32_e32 v10, vcc_lo, v8, v10, vcc_lo
	s_wait_alu 0xf1ff
	v_subrev_co_ci_u32_e64 v11, s2, 0, v11, s2
	s_delay_alu instid0(VALU_DEP_3) | instskip(NEXT) | instid1(VALU_DEP_3)
	v_cmp_le_u32_e32 vcc_lo, s18, v14
	v_cmp_eq_u32_e64 s2, s19, v10
	s_wait_alu 0xfffd
	v_cndmask_b32_e64 v14, 0, -1, vcc_lo
	v_cmp_le_u32_e32 vcc_lo, s19, v11
	s_wait_alu 0xfffd
	v_cndmask_b32_e64 v15, 0, -1, vcc_lo
	v_cmp_le_u32_e32 vcc_lo, s18, v9
	;; [unrolled: 3-line block ×3, first 2 shown]
	s_wait_alu 0xfffd
	v_cndmask_b32_e64 v16, 0, -1, vcc_lo
	v_cmp_eq_u32_e32 vcc_lo, s19, v11
	s_wait_alu 0xf1ff
	s_delay_alu instid0(VALU_DEP_2)
	v_cndmask_b32_e64 v9, v16, v9, s2
	s_wait_alu 0xfffd
	v_cndmask_b32_e32 v11, v15, v14, vcc_lo
	v_add_co_u32 v14, vcc_lo, v2, 1
	s_wait_alu 0xfffd
	v_add_co_ci_u32_e32 v15, vcc_lo, 0, v6, vcc_lo
	s_delay_alu instid0(VALU_DEP_3) | instskip(SKIP_1) | instid1(VALU_DEP_2)
	v_cmp_ne_u32_e32 vcc_lo, 0, v11
	s_wait_alu 0xfffd
	v_dual_cndmask_b32 v10, v15, v13 :: v_dual_cndmask_b32 v11, v14, v12
	v_cmp_ne_u32_e32 vcc_lo, 0, v9
	s_wait_alu 0xfffd
	s_delay_alu instid0(VALU_DEP_2) | instskip(NEXT) | instid1(VALU_DEP_3)
	v_cndmask_b32_e32 v10, v6, v10, vcc_lo
	v_cndmask_b32_e32 v9, v2, v11, vcc_lo
.LBB0_4:                                ;   in Loop: Header=BB0_2 Depth=1
	s_wait_alu 0xfffe
	s_and_not1_saveexec_b32 s2, s20
	s_cbranch_execz .LBB0_6
; %bb.5:                                ;   in Loop: Header=BB0_2 Depth=1
	v_cvt_f32_u32_e32 v2, s18
	s_sub_co_i32 s20, 0, s18
	s_delay_alu instid0(VALU_DEP_1) | instskip(NEXT) | instid1(TRANS32_DEP_1)
	v_rcp_iflag_f32_e32 v2, v2
	v_mul_f32_e32 v2, 0x4f7ffffe, v2
	s_delay_alu instid0(VALU_DEP_1) | instskip(SKIP_1) | instid1(VALU_DEP_1)
	v_cvt_u32_f32_e32 v2, v2
	s_wait_alu 0xfffe
	v_mul_lo_u32 v6, s20, v2
	s_delay_alu instid0(VALU_DEP_1) | instskip(NEXT) | instid1(VALU_DEP_1)
	v_mul_hi_u32 v6, v2, v6
	v_add_nc_u32_e32 v2, v2, v6
	s_delay_alu instid0(VALU_DEP_1) | instskip(NEXT) | instid1(VALU_DEP_1)
	v_mul_hi_u32 v2, v7, v2
	v_mul_lo_u32 v6, v2, s18
	v_add_nc_u32_e32 v9, 1, v2
	s_delay_alu instid0(VALU_DEP_2) | instskip(NEXT) | instid1(VALU_DEP_1)
	v_sub_nc_u32_e32 v6, v7, v6
	v_subrev_nc_u32_e32 v10, s18, v6
	v_cmp_le_u32_e32 vcc_lo, s18, v6
	s_wait_alu 0xfffd
	s_delay_alu instid0(VALU_DEP_2) | instskip(SKIP_2) | instid1(VALU_DEP_3)
	v_cndmask_b32_e32 v6, v6, v10, vcc_lo
	v_mov_b32_e32 v10, v5
	v_cndmask_b32_e32 v2, v2, v9, vcc_lo
	v_cmp_le_u32_e32 vcc_lo, s18, v6
	s_delay_alu instid0(VALU_DEP_2) | instskip(SKIP_1) | instid1(VALU_DEP_1)
	v_add_nc_u32_e32 v9, 1, v2
	s_wait_alu 0xfffd
	v_cndmask_b32_e32 v9, v2, v9, vcc_lo
.LBB0_6:                                ;   in Loop: Header=BB0_2 Depth=1
	s_wait_alu 0xfffe
	s_or_b32 exec_lo, exec_lo, s2
	s_load_b64 s[20:21], s[12:13], 0x0
	v_mul_lo_u32 v2, v10, s18
	v_mul_lo_u32 v6, v9, s19
	v_mad_co_u64_u32 v[11:12], null, v9, s18, 0
	s_add_nc_u64 s[14:15], s[14:15], 1
	s_add_nc_u64 s[12:13], s[12:13], 8
	s_wait_alu 0xfffe
	v_cmp_ge_u64_e64 s2, s[14:15], s[6:7]
	s_add_nc_u64 s[16:17], s[16:17], 8
	s_delay_alu instid0(VALU_DEP_2) | instskip(NEXT) | instid1(VALU_DEP_3)
	v_add3_u32 v2, v12, v6, v2
	v_sub_co_u32 v6, vcc_lo, v7, v11
	s_wait_alu 0xfffd
	s_delay_alu instid0(VALU_DEP_2) | instskip(SKIP_3) | instid1(VALU_DEP_2)
	v_sub_co_ci_u32_e32 v2, vcc_lo, v8, v2, vcc_lo
	s_and_b32 vcc_lo, exec_lo, s2
	s_wait_kmcnt 0x0
	v_mul_lo_u32 v7, s21, v6
	v_mul_lo_u32 v2, s20, v2
	v_mad_co_u64_u32 v[3:4], null, s20, v6, v[3:4]
	s_delay_alu instid0(VALU_DEP_1)
	v_add3_u32 v4, v7, v4, v2
	s_wait_alu 0xfffe
	s_cbranch_vccnz .LBB0_8
; %bb.7:                                ;   in Loop: Header=BB0_2 Depth=1
	v_dual_mov_b32 v7, v9 :: v_dual_mov_b32 v8, v10
	s_branch .LBB0_2
.LBB0_8:
	s_lshl_b64 s[2:3], s[6:7], 3
	v_mul_hi_u32 v5, 0x3030304, v0
	s_wait_alu 0xfffe
	s_add_nc_u64 s[2:3], s[10:11], s[2:3]
	v_mov_b32_e32 v22, 0
	s_load_b64 s[2:3], s[2:3], 0x0
	s_load_b64 s[0:1], s[0:1], 0x20
                                        ; implicit-def: $vgpr28
                                        ; implicit-def: $vgpr26
                                        ; implicit-def: $vgpr16
                                        ; implicit-def: $vgpr25
                                        ; implicit-def: $vgpr30
                                        ; implicit-def: $vgpr24
                                        ; implicit-def: $vgpr32
                                        ; implicit-def: $vgpr23
                                        ; implicit-def: $vgpr29
                                        ; implicit-def: $vgpr21
                                        ; implicit-def: $vgpr31
                                        ; implicit-def: $vgpr20
                                        ; implicit-def: $vgpr33
                                        ; implicit-def: $vgpr19
                                        ; implicit-def: $vgpr40
                                        ; implicit-def: $vgpr12
                                        ; implicit-def: $vgpr39
                                        ; implicit-def: $vgpr13
                                        ; implicit-def: $vgpr38
                                        ; implicit-def: $vgpr14
                                        ; implicit-def: $vgpr37
                                        ; implicit-def: $vgpr15
                                        ; implicit-def: $vgpr36
                                        ; implicit-def: $vgpr17
                                        ; implicit-def: $vgpr35
                                        ; implicit-def: $vgpr18
                                        ; implicit-def: $vgpr34
                                        ; implicit-def: $vgpr27
	s_wait_kmcnt 0x0
	v_mul_lo_u32 v6, s2, v10
	v_mul_lo_u32 v8, s3, v9
	v_mad_co_u64_u32 v[2:3], null, s2, v9, v[3:4]
	v_mul_u32_u24_e32 v4, 0x55, v5
	v_cmp_gt_u64_e32 vcc_lo, s[0:1], v[9:10]
                                        ; implicit-def: $vgpr5
	s_delay_alu instid0(VALU_DEP_2) | instskip(NEXT) | instid1(VALU_DEP_4)
	v_sub_nc_u32_e32 v7, v0, v4
	v_add3_u32 v3, v8, v3, v6
	v_mov_b32_e32 v0, 0
                                        ; implicit-def: $vgpr8
                                        ; implicit-def: $vgpr4
                                        ; implicit-def: $vgpr6
	s_delay_alu instid0(VALU_DEP_3) | instskip(NEXT) | instid1(VALU_DEP_3)
	v_cmp_gt_u32_e64 s0, 55, v7
	v_lshlrev_b64_e32 v[9:10], 2, v[2:3]
	s_delay_alu instid0(VALU_DEP_2)
	s_and_b32 s1, vcc_lo, s0
	s_wait_alu 0xfffe
	s_and_saveexec_b32 s2, s1
	s_cbranch_execz .LBB0_10
; %bb.9:
	v_mov_b32_e32 v8, 0
	v_add_co_u32 v0, s1, s8, v9
	s_wait_alu 0xf1ff
	v_add_co_ci_u32_e64 v4, s1, s9, v10, s1
	s_delay_alu instid0(VALU_DEP_3) | instskip(NEXT) | instid1(VALU_DEP_1)
	v_lshlrev_b64_e32 v[2:3], 2, v[7:8]
	v_add_co_u32 v2, s1, v0, v2
	s_wait_alu 0xf1ff
	s_delay_alu instid0(VALU_DEP_2)
	v_add_co_ci_u32_e64 v3, s1, v4, v3, s1
	s_clause 0x10
	global_load_b32 v0, v[2:3], off
	global_load_b32 v8, v[2:3], off offset:220
	global_load_b32 v16, v[2:3], off offset:440
	;; [unrolled: 1-line block ×16, first 2 shown]
	s_wait_loadcnt 0x10
	v_lshrrev_b32_e32 v22, 16, v0
	s_wait_loadcnt 0xf
	v_lshrrev_b32_e32 v28, 16, v8
	;; [unrolled: 2-line block ×17, first 2 shown]
.LBB0_10:
	s_wait_alu 0xfffe
	s_or_b32 exec_lo, exec_lo, s2
	v_add_f16_e32 v69, v8, v40
	s_delay_alu instid0(VALU_DEP_2)
	v_sub_f16_e32 v56, v28, v6
	v_add_f16_e32 v68, v16, v39
	v_sub_f16_e32 v57, v26, v12
	v_add_f16_e32 v66, v30, v38
	v_pk_mul_f16 v41, 0x37222de8, v69 op_sel_hi:[1,0]
	v_pk_mul_f16 v42, 0xb461b8d2, v69 op_sel_hi:[1,0]
	;; [unrolled: 1-line block ×4, first 2 shown]
	v_sub_f16_e32 v58, v25, v13
	v_pk_fma_f16 v3, 0xbb29bbf7, v56, v41 op_sel_hi:[1,0,1]
	v_pk_fma_f16 v11, 0xbbb2ba62, v56, v42 op_sel_hi:[1,0,1]
	v_add_f16_e32 v65, v32, v37
	v_pk_fma_f16 v45, 0xba62b1e1, v57, v55 op_sel_hi:[1,0,1]
	v_pk_mul_f16 v48, 0xbbddb461, v66 op_sel_hi:[1,0]
	v_pk_add_f16 v3, v0, v3 op_sel_hi:[0,1]
	v_pk_add_f16 v11, v0, v11 op_sel_hi:[0,1]
	v_pk_fma_f16 v46, 0x38363bb2, v57, v43 op_sel_hi:[1,0,1]
	v_pk_mul_f16 v44, 0x39e93b76, v66 op_sel_hi:[1,0]
	v_sub_f16_e32 v59, v24, v14
	v_add_f16_e32 v64, v29, v36
	v_pk_add_f16 v3, v3, v45
	v_pk_fma_f16 v47, 0x31e13bb2, v58, v48 op_sel_hi:[1,0,1]
	v_pk_mul_f16 v50, 0xb4613b76, v65 op_sel_hi:[1,0]
	v_pk_add_f16 v11, v11, v46
	v_pk_fma_f16 v46, 0x3964b5c8, v58, v44 op_sel_hi:[1,0,1]
	v_pk_mul_f16 v45, 0x3722bacd, v65 op_sel_hi:[1,0]
	v_mul_hi_u32 v2, 0xaaaaaaab, v1
	v_sub_f16_e32 v60, v23, v15
	v_add_f16_e32 v63, v31, v35
	v_pk_add_f16 v3, v3, v47
	v_pk_fma_f16 v47, 0x3bb235c8, v59, v50 op_sel_hi:[1,0,1]
	v_pk_mul_f16 v51, 0x39e93722, v64 op_sel_hi:[1,0]
	v_pk_add_f16 v11, v11, v46
	v_pk_fma_f16 v49, 0xbb29b836, v59, v45 op_sel_hi:[1,0,1]
	v_pk_mul_f16 v46, 0xbbdd2de8, v64 op_sel_hi:[1,0]
	v_lshrrev_b32_e32 v2, 1, v2
	v_sub_f16_e32 v61, v21, v17
	v_add_f16_e32 v67, v33, v34
	v_pk_add_f16 v3, v3, v47
	v_pk_fma_f16 v53, 0x3964bb29, v60, v51 op_sel_hi:[1,0,1]
	v_pk_mul_f16 v52, 0x3b76bacd, v63 op_sel_hi:[1,0]
	v_pk_add_f16 v11, v11, v49
	v_pk_fma_f16 v49, 0xb1e13bf7, v60, v46 op_sel_hi:[1,0,1]
	v_pk_mul_f16 v47, 0x2de839e9, v63 op_sel_hi:[1,0]
	v_lshl_add_u32 v2, v2, 1, v2
	v_sub_f16_e32 v62, v20, v18
	v_add_f16_e32 v71, v4, v5
	v_pk_add_f16 v3, v3, v53
	v_pk_fma_f16 v54, 0xb5c8b836, v61, v52 op_sel_hi:[1,0,1]
	v_pk_mul_f16 v53, 0x2de8b8d2, v67 op_sel_hi:[1,0]
	v_pk_add_f16 v11, v11, v49
	v_pk_fma_f16 v72, 0x3bf7b964, v61, v47 op_sel_hi:[1,0,1]
	v_pk_mul_f16 v49, 0x3b76bbdd, v67 op_sel_hi:[1,0]
	v_sub_f16_e32 v70, v19, v27
	v_pk_add_f16 v73, v3, v54
	v_pk_fma_f16 v74, 0xbbf73a62, v62, v53 op_sel_hi:[1,0,1]
	v_pk_mul_f16 v54, 0xbacd39e9, v71 op_sel_hi:[1,0]
	v_pk_add_f16 v11, v11, v72
	v_pk_fma_f16 v72, 0xb5c8b1e1, v62, v49 op_sel_hi:[1,0,1]
	v_pk_mul_f16 v3, 0xb8d23722, v71 op_sel_hi:[1,0]
	v_sub_nc_u32_e32 v1, v1, v2
	v_pk_add_f16 v2, v73, v74
	v_pk_fma_f16 v73, 0xb8363964, v70, v54 op_sel_hi:[1,0,1]
	v_pk_add_f16 v11, v11, v72
	v_pk_fma_f16 v72, 0xba623b29, v70, v3 op_sel_hi:[1,0,1]
	v_mul_u32_u24_e32 v74, 0x3a7, v1
	s_delay_alu instid0(VALU_DEP_4) | instskip(NEXT) | instid1(VALU_DEP_3)
	v_pk_add_f16 v2, v2, v73
	v_pk_add_f16 v1, v11, v72
	s_delay_alu instid0(VALU_DEP_3)
	v_lshlrev_b32_e32 v11, 1, v74
	s_and_saveexec_b32 s1, s0
	s_cbranch_execz .LBB0_12
; %bb.11:
	v_pack_b32_f16 v69, v69, v69
	v_pack_b32_f16 v73, v56, v56
	v_pk_mul_f16 v74, 0xbb29bbf7, v56 op_sel_hi:[1,0]
	v_pack_b32_f16 v68, v68, v68
	v_add_f16_e32 v72, v0, v8
	v_pk_mul_f16 v90, 0xbbddbacd, v69
	v_pk_mul_f16 v69, 0x39e93b76, v69
	v_perm_b32 v0, v0, v0, 0x5040100
	v_pack_b32_f16 v75, v57, v57
	v_pk_mul_f16 v76, 0xba62b1e1, v57 op_sel_hi:[1,0]
	v_pack_b32_f16 v66, v66, v66
	v_pk_mul_f16 v56, 0xbbb2ba62, v56 op_sel_hi:[1,0]
	v_pk_mul_f16 v91, 0x3b763722, v68
	v_pk_mul_f16 v68, 0x2de839e9, v68
	v_pk_add_f16 v41, v41, v74 neg_lo:[0,1] neg_hi:[0,1]
	v_pk_fma_f16 v74, 0xb964b5c8, v73, v69 neg_lo:[0,1,0] neg_hi:[0,1,0]
	v_pack_b32_f16 v77, v58, v58
	v_pack_b32_f16 v65, v65, v65
	v_pk_mul_f16 v57, 0x38363bb2, v57 op_sel_hi:[1,0]
	v_pk_mul_f16 v92, 0xbacd2de8, v66
	v_pk_mul_f16 v66, 0xb8d23722, v66
	v_pk_add_f16 v55, v55, v76 neg_lo:[0,1] neg_hi:[0,1]
	v_pk_fma_f16 v76, 0xbbf7b964, v75, v68 neg_lo:[0,1,0] neg_hi:[0,1,0]
	v_pk_add_f16 v41, v0, v41
	v_pk_add_f16 v74, v0, v74
	v_pk_add_f16 v42, v42, v56 neg_lo:[0,1] neg_hi:[0,1]
	v_pk_mul_f16 v78, 0x31e13bb2, v58 op_sel_hi:[1,0]
	v_pack_b32_f16 v79, v59, v59
	v_pack_b32_f16 v64, v64, v64
	v_pk_mul_f16 v58, 0x3964b5c8, v58 op_sel_hi:[1,0]
	v_pk_mul_f16 v93, 0x39e9b8d2, v65
	v_pk_mul_f16 v65, 0xbbdd2de8, v65
	v_pk_fma_f16 v56, 0xba62bb29, v77, v66 neg_lo:[0,1,0] neg_hi:[0,1,0]
	v_pk_add_f16 v41, v41, v55
	v_pk_add_f16 v55, v74, v76
	;; [unrolled: 1-line block ×3, first 2 shown]
	v_pk_add_f16 v43, v43, v57 neg_lo:[0,1] neg_hi:[0,1]
	v_add_f16_e32 v72, v72, v16
	v_pk_mul_f16 v80, 0x3bb235c8, v59 op_sel_hi:[1,0]
	v_pk_add_f16 v48, v48, v78 neg_lo:[0,1] neg_hi:[0,1]
	v_pack_b32_f16 v81, v60, v60
	v_pack_b32_f16 v63, v63, v63
	v_pk_mul_f16 v59, 0xbb29b836, v59 op_sel_hi:[1,0]
	v_pk_mul_f16 v94, 0xb8d23b76, v64
	v_pk_mul_f16 v64, 0xbacdb461, v64
	v_pk_add_f16 v55, v55, v56
	v_pk_fma_f16 v56, 0xb1e1bbf7, v79, v65 neg_lo:[0,1,0] neg_hi:[0,1,0]
	v_pk_add_f16 v42, v42, v43
	v_pk_add_f16 v43, v44, v58 neg_lo:[0,1] neg_hi:[0,1]
	v_add_f16_e32 v72, v72, v30
	v_pk_mul_f16 v82, 0x3964bb29, v60 op_sel_hi:[1,0]
	v_pk_add_f16 v41, v41, v48
	v_pk_add_f16 v48, v50, v80 neg_lo:[0,1] neg_hi:[0,1]
	v_pack_b32_f16 v83, v61, v61
	v_pack_b32_f16 v67, v67, v67
	v_pk_mul_f16 v60, 0xb1e13bf7, v60 op_sel_hi:[1,0]
	v_pk_mul_f16 v95, 0x3722bbdd, v63
	v_pk_mul_f16 v63, 0xb461b8d2, v63
	v_pk_add_f16 v44, v55, v56
	v_pk_fma_f16 v50, 0x3836bbb2, v81, v64 neg_lo:[0,1,0] neg_hi:[0,1,0]
	v_pk_add_f16 v42, v42, v43
	v_pk_add_f16 v43, v45, v59 neg_lo:[0,1] neg_hi:[0,1]
	v_add_f16_e32 v72, v72, v32
	v_pk_mul_f16 v84, 0xb5c8b836, v61 op_sel_hi:[1,0]
	v_pk_add_f16 v41, v41, v48
	;; [unrolled: 13-line block ×3, first 2 shown]
	v_pk_add_f16 v48, v52, v84 neg_lo:[0,1] neg_hi:[0,1]
	v_pack_b32_f16 v87, v70, v70
	v_pk_mul_f16 v62, 0xb5c8b1e1, v62 op_sel_hi:[1,0]
	v_pk_mul_f16 v97, 0x2de8b461, v71
	v_pk_mul_f16 v71, 0x3b76bbdd, v71
	v_pk_add_f16 v44, v44, v45
	v_pk_fma_f16 v45, 0x3b29b836, v85, v67 neg_lo:[0,1,0] neg_hi:[0,1,0]
	v_pk_add_f16 v42, v42, v43
	v_pk_add_f16 v43, v47, v61 neg_lo:[0,1] neg_hi:[0,1]
	v_add_f16_e32 v72, v72, v31
	v_pk_mul_f16 v88, 0xb8363964, v70 op_sel_hi:[1,0]
	v_pk_add_f16 v41, v41, v48
	v_pk_add_f16 v46, v53, v86 neg_lo:[0,1] neg_hi:[0,1]
	v_pk_add_f16 v44, v44, v45
	v_pk_fma_f16 v45, 0x35c8b1e1, v87, v71 neg_lo:[0,1,0] neg_hi:[0,1,0]
	v_pk_add_f16 v42, v42, v43
	v_pk_add_f16 v43, v49, v62 neg_lo:[0,1] neg_hi:[0,1]
	v_add_f16_e32 v72, v72, v33
	v_pk_add_f16 v46, v41, v46
	v_pk_add_f16 v47, v54, v88 neg_lo:[0,1] neg_hi:[0,1]
	v_pk_add_f16 v41, v44, v45
	v_pk_fma_f16 v45, 0xb1e1b836, v73, v90
	v_pk_add_f16 v42, v42, v43
	v_pk_fma_f16 v43, 0xb964b5c8, v73, v69
	v_add_f16_e32 v72, v72, v4
	v_pk_add_f16 v44, v46, v47
	v_pk_fma_f16 v46, 0xb1e1b836, v73, v90 neg_lo:[0,1,0] neg_hi:[0,1,0]
	v_pk_add_f16 v45, v0, v45
	v_pk_fma_f16 v47, 0x35c83b29, v75, v91
	v_pk_add_f16 v43, v0, v43
	v_pk_fma_f16 v49, 0xbbf7b964, v75, v68
	v_add_f16_e32 v72, v72, v5
	v_pk_add_f16 v0, v0, v46
	v_pk_fma_f16 v46, 0x35c83b29, v75, v91 neg_lo:[0,1,0] neg_hi:[0,1,0]
	;; [unrolled: 7-line block ×5, first 2 shown]
	v_pk_add_f16 v45, v45, v47
	v_pk_fma_f16 v47, 0x3b29b1e1, v83, v95
	v_pk_add_f16 v43, v43, v49
	v_pk_fma_f16 v49, 0x3bb2ba62, v83, v63
	v_add_f16_e32 v72, v37, v72
	v_pk_mul_f16 v70, 0xba623b29, v70 op_sel_hi:[1,0]
	v_pk_add_f16 v0, v0, v46
	v_pk_fma_f16 v46, 0x3b29b1e1, v83, v95 neg_lo:[0,1,0] neg_hi:[0,1,0]
	v_pk_add_f16 v45, v45, v47
	v_pk_fma_f16 v47, 0xbbb23964, v85, v96
	v_pk_add_f16 v43, v43, v49
	v_pk_fma_f16 v49, 0x3b29b836, v85, v67
	v_add_f16_e32 v72, v38, v72
	v_pk_add_f16 v3, v3, v70 neg_lo:[0,1] neg_hi:[0,1]
	v_pk_add_f16 v0, v0, v46
	v_pk_fma_f16 v46, 0xbbb23964, v85, v96 neg_lo:[0,1,0] neg_hi:[0,1,0]
	v_pk_add_f16 v45, v45, v47
	v_pk_fma_f16 v47, 0x3bf7bbb2, v87, v97
	v_pk_add_f16 v43, v43, v49
	v_pk_fma_f16 v49, 0x35c8b1e1, v87, v71
	v_mul_u32_u24_e32 v89, 34, v7
	v_add_f16_e32 v72, v39, v72
	v_pk_add_f16 v3, v42, v3
	v_pk_add_f16 v0, v0, v46
	v_pk_fma_f16 v46, 0x3bf7bbb2, v87, v97 neg_lo:[0,1,0] neg_hi:[0,1,0]
	v_pk_add_f16 v45, v45, v47
	v_pk_add_f16 v47, v43, v49
	v_add_f16_e32 v72, v40, v72
	v_add3_u32 v48, 0, v89, v11
	v_alignbit_b32 v42, v44, v44, 16
	v_alignbit_b32 v43, v3, v3, 16
	v_pk_add_f16 v44, v0, v46
	v_alignbit_b32 v0, v45, v45, 16
	v_alignbit_b32 v3, v47, v47, 16
	ds_store_b16 v48, v72
	ds_store_b128 v48, v[41:44] offset:2
	ds_store_b128 v48, v[0:3] offset:18
.LBB0_12:
	s_wait_alu 0xfffe
	s_or_b32 exec_lo, exec_lo, s1
	v_sub_f16_e32 v65, v8, v40
	v_add_f16_e32 v55, v28, v6
	v_sub_f16_e32 v63, v16, v39
	v_add_f16_e32 v56, v26, v12
	v_sub_f16_e32 v64, v30, v38
	v_pk_mul_f16 v47, 0xbb29bbf7, v65 op_sel_hi:[1,0]
	v_pk_mul_f16 v45, 0xbbb2ba62, v65 op_sel_hi:[1,0]
	;; [unrolled: 1-line block ×3, first 2 shown]
	v_add_f16_e32 v57, v25, v13
	v_sub_f16_e32 v62, v32, v37
	v_pk_fma_f16 v0, 0x37222de8, v55, v47 op_sel_hi:[1,0,1] neg_lo:[0,0,1] neg_hi:[0,0,1]
	v_pk_mul_f16 v50, 0x31e13bb2, v64 op_sel_hi:[1,0]
	v_pk_fma_f16 v3, 0xb8d2bbdd, v56, v48 op_sel_hi:[1,0,1] neg_lo:[0,0,1] neg_hi:[0,0,1]
	v_pk_fma_f16 v8, 0xb461b8d2, v55, v45 op_sel_hi:[1,0,1] neg_lo:[0,0,1] neg_hi:[0,0,1]
	v_pk_mul_f16 v46, 0x38363bb2, v63 op_sel_hi:[1,0]
	v_pk_add_f16 v0, v22, v0 op_sel_hi:[0,1]
	v_add_f16_e32 v58, v24, v14
	v_sub_f16_e32 v68, v29, v36
	v_pk_mul_f16 v51, 0x3bb235c8, v62 op_sel_hi:[1,0]
	v_pk_add_f16 v8, v22, v8 op_sel_hi:[0,1]
	v_pk_add_f16 v0, v0, v3
	v_pk_fma_f16 v3, 0xbbddb461, v57, v50 op_sel_hi:[1,0,1] neg_lo:[0,0,1] neg_hi:[0,0,1]
	v_pk_fma_f16 v16, 0xbacdb461, v56, v46 op_sel_hi:[1,0,1] neg_lo:[0,0,1] neg_hi:[0,0,1]
	v_pk_mul_f16 v44, 0x3964b5c8, v64 op_sel_hi:[1,0]
	v_add_f16_e32 v59, v23, v15
	v_sub_f16_e32 v67, v31, v35
	v_pk_add_f16 v0, v0, v3
	v_pk_fma_f16 v3, 0xb4613b76, v58, v51 op_sel_hi:[1,0,1] neg_lo:[0,0,1] neg_hi:[0,0,1]
	v_pk_mul_f16 v52, 0x3964bb29, v68 op_sel_hi:[1,0]
	v_pk_add_f16 v8, v8, v16
	v_pk_fma_f16 v16, 0x39e93b76, v57, v44 op_sel_hi:[1,0,1] neg_lo:[0,0,1] neg_hi:[0,0,1]
	v_pk_mul_f16 v40, 0xbb29b836, v62 op_sel_hi:[1,0]
	v_add_f16_e32 v60, v21, v17
	v_pk_add_f16 v0, v0, v3
	v_pk_fma_f16 v3, 0x39e93722, v59, v52 op_sel_hi:[1,0,1] neg_lo:[0,0,1] neg_hi:[0,0,1]
	v_pk_mul_f16 v49, 0xb5c8b836, v67 op_sel_hi:[1,0]
	v_pk_add_f16 v8, v8, v16
	v_pk_fma_f16 v16, 0x3722bacd, v58, v40 op_sel_hi:[1,0,1] neg_lo:[0,0,1] neg_hi:[0,0,1]
	v_sub_f16_e32 v70, v4, v5
	v_pk_add_f16 v0, v0, v3
	v_pk_fma_f16 v3, 0x3b76bacd, v60, v49 op_sel_hi:[1,0,1] neg_lo:[0,0,1] neg_hi:[0,0,1]
	v_pk_mul_f16 v39, 0xb1e13bf7, v68 op_sel_hi:[1,0]
	v_pk_add_f16 v4, v8, v16
	v_lshlrev_b32_e32 v8, 1, v7
	v_sub_f16_e32 v69, v33, v34
	v_pk_add_f16 v71, v0, v3
	global_wb scope:SCOPE_SE
	s_wait_dscnt 0x0
	s_barrier_signal -1
	v_add_nc_u32_e32 v3, 0, v8
	v_add3_u32 v8, 0, v11, v8
	s_barrier_wait -1
	global_inv scope:SCOPE_SE
	v_pk_fma_f16 v5, 0xbbdd2de8, v59, v39 op_sel_hi:[1,0,1] neg_lo:[0,0,1] neg_hi:[0,0,1]
	v_add_nc_u32_e32 v0, v3, v11
	ds_load_u16 v16, v8
	ds_load_u16 v38, v0 offset:170
	ds_load_u16 v37, v0 offset:340
	;; [unrolled: 1-line block ×10, first 2 shown]
	v_pk_mul_f16 v41, 0x3bf7b964, v67 op_sel_hi:[1,0]
	v_add_f16_e32 v61, v20, v18
	v_pk_mul_f16 v53, 0xbbf73a62, v69 op_sel_hi:[1,0]
	v_pk_add_f16 v4, v4, v5
	v_pk_mul_f16 v42, 0xb5c8b1e1, v69 op_sel_hi:[1,0]
	v_pk_fma_f16 v5, 0x2de839e9, v60, v41 op_sel_hi:[1,0,1] neg_lo:[0,0,1] neg_hi:[0,0,1]
	v_add_f16_e32 v66, v19, v27
	v_pk_fma_f16 v72, 0x2de8b8d2, v61, v53 op_sel_hi:[1,0,1] neg_lo:[0,0,1] neg_hi:[0,0,1]
	v_pk_mul_f16 v54, 0xb8363964, v70 op_sel_hi:[1,0]
	v_pk_mul_f16 v43, 0xba623b29, v70 op_sel_hi:[1,0]
	v_pk_add_f16 v4, v4, v5
	v_pk_fma_f16 v5, 0x3b76bbdd, v61, v42 op_sel_hi:[1,0,1] neg_lo:[0,0,1] neg_hi:[0,0,1]
	v_pk_add_f16 v71, v71, v72
	v_pk_fma_f16 v72, 0xbacd39e9, v66, v54 op_sel_hi:[1,0,1] neg_lo:[0,0,1] neg_hi:[0,0,1]
	v_pk_fma_f16 v73, 0xb8d23722, v66, v43 op_sel_hi:[1,0,1] neg_lo:[0,0,1] neg_hi:[0,0,1]
	global_wb scope:SCOPE_SE
	s_wait_dscnt 0x0
	v_pk_add_f16 v4, v4, v5
	s_barrier_signal -1
	v_pk_add_f16 v5, v71, v72
	s_barrier_wait -1
	global_inv scope:SCOPE_SE
	v_pk_add_f16 v4, v4, v73
	s_and_saveexec_b32 s1, s0
	s_cbranch_execz .LBB0_14
; %bb.13:
	v_add_f16_e32 v28, v22, v28
	v_pack_b32_f16 v65, v65, v65
	v_pack_b32_f16 v71, v55, v55
	v_perm_b32 v22, v22, v22, 0x5040100
	v_pack_b32_f16 v72, v56, v56
	v_add_f16_e32 v26, v28, v26
	v_pack_b32_f16 v28, v63, v63
	v_pack_b32_f16 v64, v64, v64
	;; [unrolled: 1-line block ×4, first 2 shown]
	v_add_f16_e32 v25, v26, v25
	v_pack_b32_f16 v26, v62, v62
	v_pack_b32_f16 v62, v59, v59
	;; [unrolled: 1-line block ×3, first 2 shown]
	v_pk_mul_f16 v78, 0x39e93722, v59 op_sel_hi:[1,0]
	v_add_f16_e32 v24, v25, v24
	v_pack_b32_f16 v25, v67, v67
	v_pack_b32_f16 v67, v61, v61
	v_pk_mul_f16 v79, 0x3b76bacd, v60 op_sel_hi:[1,0]
	v_pk_mul_f16 v80, 0x2de8b8d2, v61 op_sel_hi:[1,0]
	v_add_f16_e32 v23, v24, v23
	v_pack_b32_f16 v63, v57, v57
	v_pack_b32_f16 v24, v70, v70
	v_pk_mul_f16 v70, 0x37222de8, v55 op_sel_hi:[1,0]
	v_pk_mul_f16 v81, 0xba62bb29, v64
	v_add_f16_e32 v21, v23, v21
	v_pk_mul_f16 v23, 0xb4613b76, v58 op_sel_hi:[1,0]
	v_pack_b32_f16 v68, v68, v68
	v_pk_mul_f16 v76, 0xb8d2bbdd, v56 op_sel_hi:[1,0]
	v_pk_mul_f16 v82, 0xb1e1bbf7, v26
	v_add_f16_e32 v20, v21, v20
	v_pk_mul_f16 v21, 0xbacd39e9, v66 op_sel_hi:[1,0]
	v_pk_add_f16 v47, v70, v47
	v_pk_fma_f16 v70, 0xb8d23722, v63, v81
	v_pk_mul_f16 v83, 0x3836bbb2, v68
	v_add_f16_e32 v19, v20, v19
	v_pk_mul_f16 v20, 0x3722bacd, v58 op_sel_hi:[1,0]
	v_pk_mul_f16 v58, 0xbbdd2de8, v59 op_sel_hi:[1,0]
	;; [unrolled: 1-line block ×4, first 2 shown]
	v_add_f16_e32 v19, v19, v27
	v_pk_mul_f16 v27, 0xb964b5c8, v65
	v_pk_mul_f16 v61, 0xb8d23722, v66 op_sel_hi:[1,0]
	v_pk_mul_f16 v66, 0xbbf7b964, v28
	v_pack_b32_f16 v69, v69, v69
	v_add_f16_e32 v18, v18, v19
	v_pk_fma_f16 v19, 0x39e93b76, v71, v27
	v_pk_fma_f16 v27, 0x39e93b76, v71, v27 neg_lo:[0,0,1] neg_hi:[0,0,1]
	v_pk_fma_f16 v84, 0x2de839e9, v72, v66
	v_pk_fma_f16 v66, 0x2de839e9, v72, v66 neg_lo:[0,0,1] neg_hi:[0,0,1]
	v_add_f16_e32 v17, v17, v18
	v_pk_add_f16 v18, v22, v19
	v_pk_add_f16 v27, v22, v27
	v_pk_mul_f16 v19, 0x3bb2ba62, v25
	v_pk_mul_f16 v77, 0xbbddb461, v57 op_sel_hi:[1,0]
	v_add_f16_e32 v15, v15, v17
	v_pk_add_f16 v17, v18, v84
	v_pk_add_f16 v18, v76, v48
	v_pk_fma_f16 v48, 0xbbdd2de8, v73, v82
	v_pk_add_f16 v27, v27, v66
	v_add_f16_e32 v14, v14, v15
	v_pk_add_f16 v15, v17, v70
	v_pk_fma_f16 v17, 0xbacdb461, v62, v83
	v_pk_mul_f16 v55, 0xb461b8d2, v55 op_sel_hi:[1,0]
	v_pk_mul_f16 v56, 0xbacdb461, v56 op_sel_hi:[1,0]
	v_add_f16_e32 v13, v13, v14
	v_pk_add_f16 v14, v15, v48
	v_pk_fma_f16 v48, 0xb8d23722, v63, v81 neg_lo:[0,0,1] neg_hi:[0,0,1]
	v_pk_fma_f16 v15, 0xb461b8d2, v74, v19
	v_pk_mul_f16 v57, 0x39e93b76, v57 op_sel_hi:[1,0]
	v_add_f16_e32 v12, v12, v13
	v_pk_add_f16 v13, v14, v17
	v_pk_fma_f16 v14, 0xbbdd2de8, v73, v82 neg_lo:[0,0,1] neg_hi:[0,0,1]
	v_pk_add_f16 v17, v22, v47
	v_pk_add_f16 v27, v27, v48
	v_add_f16_e32 v47, v6, v12
	v_pk_add_f16 v6, v13, v15
	v_pk_mul_f16 v12, 0x3b29b836, v69
	v_pk_add_f16 v13, v17, v18
	v_pk_add_f16 v15, v77, v50
	;; [unrolled: 1-line block ×3, first 2 shown]
	v_pk_fma_f16 v17, 0xbacdb461, v62, v83 neg_lo:[0,0,1] neg_hi:[0,0,1]
	v_pk_fma_f16 v18, 0x3722bacd, v67, v12
	v_pk_mul_f16 v27, 0x35c8b1e1, v24
	v_pk_add_f16 v13, v13, v15
	v_pk_add_f16 v15, v23, v51
	;; [unrolled: 1-line block ×3, first 2 shown]
	v_pk_fma_f16 v17, 0xb461b8d2, v74, v19 neg_lo:[0,0,1] neg_hi:[0,0,1]
	v_pk_add_f16 v6, v6, v18
	v_pk_fma_f16 v18, 0x3b76bbdd, v75, v27
	v_pk_add_f16 v13, v13, v15
	v_pk_add_f16 v15, v78, v52
	;; [unrolled: 1-line block ×3, first 2 shown]
	v_pk_fma_f16 v17, 0x3722bacd, v67, v12 neg_lo:[0,0,1] neg_hi:[0,0,1]
	v_pk_add_f16 v12, v6, v18
	v_pk_add_f16 v6, v55, v45
	;; [unrolled: 1-line block ×5, first 2 shown]
	v_pk_fma_f16 v17, 0x3b76bbdd, v75, v27 neg_lo:[0,0,1] neg_hi:[0,0,1]
	v_pk_add_f16 v6, v22, v6
	v_pk_add_f16 v18, v56, v46
	;; [unrolled: 1-line block ×5, first 2 shown]
	v_pk_mul_f16 v14, 0xb1e1b836, v65
	v_pk_add_f16 v6, v6, v18
	v_pk_add_f16 v18, v57, v44
	;; [unrolled: 1-line block ×4, first 2 shown]
	v_pk_fma_f16 v19, 0xbbddbacd, v71, v14
	v_pk_mul_f16 v21, 0x35c83b29, v28
	v_pk_fma_f16 v14, 0xbbddbacd, v71, v14 neg_lo:[0,0,1] neg_hi:[0,0,1]
	v_pk_add_f16 v6, v6, v18
	v_pk_add_f16 v18, v20, v40
	;; [unrolled: 1-line block ×3, first 2 shown]
	v_pk_fma_f16 v20, 0x3b763722, v72, v21
	v_pk_mul_f16 v23, 0xb836bbf7, v64
	v_pk_add_f16 v14, v22, v14
	v_pk_fma_f16 v21, 0x3b763722, v72, v21 neg_lo:[0,0,1] neg_hi:[0,0,1]
	v_pk_add_f16 v6, v6, v18
	v_pk_add_f16 v18, v19, v20
	v_pk_fma_f16 v19, 0xbacd2de8, v63, v23
	v_pk_mul_f16 v20, 0x39643a62, v26
	v_pk_add_f16 v14, v14, v21
	v_pk_fma_f16 v21, 0xbacd2de8, v63, v23 neg_lo:[0,0,1] neg_hi:[0,0,1]
	v_pk_mul_f16 v23, 0xba62b5c8, v68
	v_pk_add_f16 v18, v18, v19
	v_pk_fma_f16 v19, 0x39e9b8d2, v73, v20
	v_pk_fma_f16 v20, 0x39e9b8d2, v73, v20 neg_lo:[0,0,1] neg_hi:[0,0,1]
	v_pk_add_f16 v14, v14, v21
	v_pk_add_f16 v22, v58, v39
	v_pk_mul_f16 v21, 0x3b29b1e1, v25
	v_pk_add_f16 v18, v18, v19
	v_pk_fma_f16 v19, 0xb8d23b76, v62, v23
	v_pk_add_f16 v14, v14, v20
	v_pk_fma_f16 v20, 0xb8d23b76, v62, v23 neg_lo:[0,0,1] neg_hi:[0,0,1]
	v_pk_add_f16 v6, v6, v22
	v_pk_add_f16 v22, v59, v41
	v_pk_add_f16 v18, v18, v19
	v_pk_fma_f16 v19, 0x3722bbdd, v74, v21
	v_pk_mul_f16 v23, 0xbbb23964, v69
	v_pk_add_f16 v14, v14, v20
	v_pk_fma_f16 v20, 0x3722bbdd, v74, v21 neg_lo:[0,0,1] neg_hi:[0,0,1]
	v_pk_add_f16 v6, v6, v22
	v_pk_add_f16 v21, v60, v42
	;; [unrolled: 1-line block ×3, first 2 shown]
	v_pk_fma_f16 v19, 0xb46139e9, v67, v23
	v_pk_add_f16 v14, v14, v20
	v_pk_fma_f16 v20, 0xb46139e9, v67, v23 neg_lo:[0,0,1] neg_hi:[0,0,1]
	v_pk_mul_f16 v22, 0x3bf7bbb2, v24
	v_pk_add_f16 v6, v6, v21
	v_pk_add_f16 v21, v61, v43
	;; [unrolled: 1-line block ×4, first 2 shown]
	v_pk_fma_f16 v19, 0x2de8b461, v75, v22 neg_lo:[0,0,1] neg_hi:[0,0,1]
	v_pk_fma_f16 v20, 0x2de8b461, v75, v22
	v_lshlrev_b32_e32 v22, 5, v7
	v_pk_add_f16 v13, v13, v15
	v_pk_add_f16 v6, v6, v21
	;; [unrolled: 1-line block ×4, first 2 shown]
	v_add3_u32 v18, v3, v22, v11
	v_alignbit_b32 v13, v13, v13, 16
	v_alignbit_b32 v14, v6, v6, 16
	;; [unrolled: 1-line block ×4, first 2 shown]
	ds_store_b16 v18, v47
	ds_store_b128 v18, v[12:15] offset:2
	ds_store_b128 v18, v[3:6] offset:18
.LBB0_14:
	s_wait_alu 0xfffe
	s_or_b32 exec_lo, exec_lo, s1
	v_and_b32_e32 v3, 0xff, v7
	global_wb scope:SCOPE_SE
	s_wait_dscnt 0x0
	s_barrier_signal -1
	s_barrier_wait -1
	global_inv scope:SCOPE_SE
	v_mul_lo_u16 v3, 0xf1, v3
	v_cmp_gt_u32_e64 s0, 17, v7
	s_delay_alu instid0(VALU_DEP_2) | instskip(NEXT) | instid1(VALU_DEP_1)
	v_lshrrev_b16 v3, 12, v3
	v_mul_lo_u16 v6, v3, 17
	v_and_b32_e32 v3, 0xffff, v3
	s_delay_alu instid0(VALU_DEP_2) | instskip(NEXT) | instid1(VALU_DEP_2)
	v_sub_nc_u16 v6, v7, v6
	v_mad_u32_u24 v3, 0x176, v3, 0
	s_delay_alu instid0(VALU_DEP_2) | instskip(NEXT) | instid1(VALU_DEP_1)
	v_and_b32_e32 v6, 0xff, v6
	v_mul_u32_u24_e32 v12, 10, v6
	v_lshlrev_b32_e32 v6, 1, v6
	s_delay_alu instid0(VALU_DEP_2) | instskip(NEXT) | instid1(VALU_DEP_2)
	v_lshlrev_b32_e32 v12, 2, v12
	v_add3_u32 v11, v3, v6, v11
	s_clause 0x2
	global_load_b128 v[17:20], v12, s[4:5]
	global_load_b128 v[46:49], v12, s[4:5] offset:16
	global_load_b64 v[14:15], v12, s[4:5] offset:32
	ds_load_u16 v39, v8
	ds_load_u16 v21, v0 offset:170
	ds_load_u16 v22, v0 offset:340
	;; [unrolled: 1-line block ×10, first 2 shown]
	global_wb scope:SCOPE_SE
	s_wait_loadcnt_dscnt 0x0
	s_barrier_signal -1
	s_barrier_wait -1
	global_inv scope:SCOPE_SE
	v_lshrrev_b32_e32 v3, 16, v17
	v_lshrrev_b32_e32 v6, 16, v18
	;; [unrolled: 1-line block ×7, first 2 shown]
	v_mul_f16_e32 v56, v21, v3
	v_lshrrev_b32_e32 v13, 16, v20
	v_lshrrev_b32_e32 v27, 16, v47
	;; [unrolled: 1-line block ×3, first 2 shown]
	v_mul_f16_e32 v45, v38, v3
	v_mul_f16_e32 v3, v22, v6
	;; [unrolled: 1-line block ×12, first 2 shown]
	v_fma_f16 v38, v38, v17, -v56
	v_mul_f16_e32 v57, v24, v13
	v_mul_f16_e32 v25, v35, v13
	;; [unrolled: 1-line block ×6, first 2 shown]
	v_fmac_f16_e32 v45, v21, v17
	v_fma_f16 v37, v37, v18, -v3
	v_fmac_f16_e32 v42, v54, v15
	v_add_f16_e32 v3, v16, v38
	v_mul_f16_e32 v59, v50, v27
	v_fmac_f16_e32 v44, v22, v18
	v_fma_f16 v36, v36, v19, -v6
	v_fmac_f16_e32 v40, v23, v19
	v_fmac_f16_e32 v25, v24, v20
	;; [unrolled: 1-line block ×6, first 2 shown]
	v_fma_f16 v31, v31, v15, -v63
	v_fma_f16 v29, v29, v14, -v62
	v_fmac_f16_e32 v43, v53, v14
	v_sub_f16_e32 v14, v45, v42
	v_add_f16_e32 v3, v3, v37
	v_fma_f16 v27, v35, v20, -v57
	v_fma_f16 v23, v34, v46, -v58
	;; [unrolled: 1-line block ×5, first 2 shown]
	v_add_f16_e32 v6, v38, v31
	v_sub_f16_e32 v17, v44, v43
	v_sub_f16_e32 v19, v40, v41
	;; [unrolled: 1-line block ×4, first 2 shown]
	v_mul_f16_e32 v33, 0xb853, v14
	v_mul_f16_e32 v34, 0xbb47, v14
	;; [unrolled: 1-line block ×5, first 2 shown]
	v_add_f16_e32 v3, v3, v36
	v_add_f16_e32 v15, v37, v29
	;; [unrolled: 1-line block ×5, first 2 shown]
	v_mul_f16_e32 v47, 0xbb47, v17
	v_mul_f16_e32 v48, 0xba0c, v17
	v_mul_f16_e32 v49, 0x3482, v17
	v_mul_f16_e32 v50, 0x3beb, v17
	v_mul_f16_e32 v17, 0x3853, v17
	v_mul_f16_e32 v51, 0xbbeb, v19
	v_mul_f16_e32 v52, 0x3482, v19
	v_mul_f16_e32 v53, 0x3b47, v19
	v_mul_f16_e32 v54, 0xb853, v19
	v_mul_f16_e32 v19, 0xba0c, v19
	v_mul_f16_e32 v55, 0xba0c, v21
	v_mul_f16_e32 v56, 0x3beb, v21
	v_mul_f16_e32 v57, 0xb853, v21
	v_mul_f16_e32 v58, 0xb482, v21
	v_mul_f16_e32 v21, 0x3b47, v21
	v_mul_f16_e32 v59, 0xb482, v32
	v_mul_f16_e32 v60, 0x3853, v32
	v_mul_f16_e32 v61, 0xba0c, v32
	v_mul_f16_e32 v62, 0x3b47, v32
	v_mul_f16_e32 v32, 0xbbeb, v32
	v_fma_f16 v63, v6, 0x3abb, -v33
	v_fmac_f16_e32 v33, 0x3abb, v6
	v_fma_f16 v64, v6, 0x36a6, -v34
	v_fmac_f16_e32 v34, 0x36a6, v6
	v_fma_f16 v65, v6, 0xb08e, -v35
	v_fma_f16 v67, v6, 0xbbad, -v14
	v_fmac_f16_e32 v14, 0xbbad, v6
	v_add_f16_e32 v3, v3, v27
	v_fmac_f16_e32 v35, 0xb08e, v6
	v_fma_f16 v66, v6, 0xb93d, -v46
	v_fmac_f16_e32 v46, 0xb93d, v6
	v_fma_f16 v6, v15, 0x36a6, -v47
	;; [unrolled: 2-line block ×21, first 2 shown]
	v_fmac_f16_e32 v32, 0xb08e, v22
	v_add_f16_e32 v22, v16, v63
	v_add_f16_e32 v33, v16, v33
	;; [unrolled: 1-line block ×56, first 2 shown]
	ds_store_b16 v11, v19 offset:272
	ds_store_b16 v11, v16 offset:306
	;; [unrolled: 1-line block ×3, first 2 shown]
	ds_store_b16 v11, v18
	ds_store_b16 v11, v6 offset:34
	ds_store_b16 v11, v15 offset:68
	;; [unrolled: 1-line block ×7, first 2 shown]
	global_wb scope:SCOPE_SE
	s_wait_dscnt 0x0
	s_barrier_signal -1
	s_barrier_wait -1
	global_inv scope:SCOPE_SE
	ds_load_u16 v6, v8
	ds_load_u16 v19, v0 offset:1292
	ds_load_u16 v15, v0 offset:1122
	;; [unrolled: 1-line block ×9, first 2 shown]
	s_and_saveexec_b32 s1, s0
	s_cbranch_execz .LBB0_16
; %bb.15:
	ds_load_u16 v1, v0 offset:714
	ds_load_u16 v2, v0 offset:1462
	ds_load_u16 v3, v0 offset:340
	s_wait_dscnt 0x2
	ds_load_u16_d16_hi v1, v0 offset:1088
	s_wait_dscnt 0x2
	ds_load_u16_d16_hi v2, v0 offset:1836
.LBB0_16:
	s_wait_alu 0xfffe
	s_or_b32 exec_lo, exec_lo, s1
	v_add_f16_e32 v32, v39, v45
	v_sub_f16_e32 v31, v38, v31
	v_add_f16_e32 v33, v45, v42
	v_add_f16_e32 v34, v44, v43
	v_sub_f16_e32 v29, v37, v29
	v_add_f16_e32 v32, v32, v44
	v_mul_f16_e32 v35, 0xb853, v31
	v_mul_f16_e32 v37, 0xbb47, v31
	;; [unrolled: 1-line block ×4, first 2 shown]
	v_add_f16_e32 v32, v32, v40
	v_mul_f16_e32 v31, 0xb482, v31
	v_mul_f16_e32 v46, 0xba0c, v29
	v_fmamk_f16 v48, v33, 0x3abb, v35
	v_fma_f16 v35, v33, 0x3abb, -v35
	v_add_f16_e32 v32, v32, v25
	v_fmamk_f16 v49, v33, 0x36a6, v37
	v_fma_f16 v37, v33, 0x36a6, -v37
	v_fmamk_f16 v50, v33, 0xb08e, v38
	v_fma_f16 v38, v33, 0xb08e, -v38
	v_add_f16_e32 v32, v32, v12
	v_fmamk_f16 v51, v33, 0xb93d, v44
	v_fma_f16 v44, v33, 0xb93d, -v44
	v_fmamk_f16 v52, v33, 0xbbad, v31
	v_fma_f16 v31, v33, 0xbbad, -v31
	v_add_f16_e32 v32, v32, v13
	v_mul_f16_e32 v47, 0x3482, v29
	v_add_f16_e32 v48, v39, v48
	v_add_f16_e32 v35, v39, v35
	;; [unrolled: 1-line block ×10, first 2 shown]
	v_mul_f16_e32 v45, 0xbb47, v29
	v_fmamk_f16 v53, v34, 0xb93d, v46
	v_sub_f16_e32 v30, v36, v30
	v_add_f16_e32 v32, v32, v43
	v_add_f16_e32 v43, v39, v44
	;; [unrolled: 1-line block ×3, first 2 shown]
	v_fma_f16 v39, v34, 0xb93d, -v46
	v_fma_f16 v46, v34, 0xbbad, -v47
	v_fmamk_f16 v33, v34, 0x36a6, v45
	v_add_f16_e32 v40, v40, v41
	v_mul_f16_e32 v41, 0xbbeb, v30
	v_add_f16_e32 v37, v39, v37
	v_mul_f16_e32 v39, 0x3beb, v29
	v_mul_f16_e32 v29, 0x3853, v29
	v_add_f16_e32 v38, v46, v38
	v_fma_f16 v45, v34, 0x36a6, -v45
	v_add_f16_e32 v33, v33, v48
	v_fmamk_f16 v36, v34, 0xb08e, v39
	v_fma_f16 v39, v34, 0xb08e, -v39
	v_fmamk_f16 v46, v34, 0x3abb, v29
	v_add_f16_e32 v32, v32, v42
	v_fmamk_f16 v42, v34, 0xbbad, v47
	v_fma_f16 v29, v34, 0x3abb, -v29
	v_add_f16_e32 v34, v39, v43
	v_add_f16_e32 v39, v46, v44
	v_fmamk_f16 v43, v40, 0xb08e, v41
	v_mul_f16_e32 v44, 0x3482, v30
	v_add_f16_e32 v35, v45, v35
	v_add_f16_e32 v29, v29, v31
	v_fma_f16 v31, v40, 0xb08e, -v41
	v_add_f16_e32 v33, v43, v33
	v_fmamk_f16 v43, v40, 0xbbad, v44
	v_fma_f16 v44, v40, 0xbbad, -v44
	v_mul_f16_e32 v41, 0x3b47, v30
	v_sub_f16_e32 v27, v27, v28
	v_add_f16_e32 v42, v42, v50
	v_add_f16_e32 v36, v36, v51
	;; [unrolled: 1-line block ×3, first 2 shown]
	v_mul_f16_e32 v44, 0xb853, v30
	v_add_f16_e32 v31, v31, v35
	v_fmamk_f16 v35, v40, 0x36a6, v41
	v_fma_f16 v41, v40, 0x36a6, -v41
	v_mul_f16_e32 v28, 0xba0c, v30
	v_fmamk_f16 v30, v40, 0x3abb, v44
	v_add_f16_e32 v25, v25, v26
	v_mul_f16_e32 v26, 0xba0c, v27
	v_add_f16_e32 v35, v35, v42
	v_add_f16_e32 v38, v41, v38
	v_fma_f16 v41, v40, 0x3abb, -v44
	v_fmamk_f16 v42, v40, 0xb93d, v28
	v_add_f16_e32 v30, v30, v36
	v_fma_f16 v28, v40, 0xb93d, -v28
	v_fmamk_f16 v36, v25, 0xb93d, v26
	v_mul_f16_e32 v40, 0x3beb, v27
	v_fma_f16 v26, v25, 0xb93d, -v26
	v_sub_f16_e32 v23, v23, v24
	v_add_f16_e32 v28, v28, v29
	v_add_f16_e32 v29, v36, v33
	v_fmamk_f16 v36, v25, 0xb08e, v40
	v_add_f16_e32 v26, v26, v31
	v_fma_f16 v31, v25, 0xb08e, -v40
	v_mul_f16_e32 v40, 0xb482, v27
	v_mul_f16_e32 v33, 0xb853, v27
	;; [unrolled: 1-line block ×3, first 2 shown]
	v_add_f16_e32 v34, v41, v34
	v_add_f16_e32 v31, v31, v37
	v_fmamk_f16 v37, v25, 0xbbad, v40
	v_add_f16_e32 v39, v42, v39
	v_fmamk_f16 v41, v25, 0x3abb, v33
	v_fma_f16 v33, v25, 0x3abb, -v33
	v_add_f16_e32 v12, v12, v13
	v_add_f16_e32 v24, v37, v30
	v_fma_f16 v30, v25, 0xbbad, -v40
	v_fmamk_f16 v37, v25, 0x36a6, v27
	v_mul_f16_e32 v13, 0xb482, v23
	v_fma_f16 v25, v25, 0x36a6, -v27
	v_add_f16_e32 v45, v53, v49
	v_add_f16_e32 v27, v30, v34
	;; [unrolled: 1-line block ×3, first 2 shown]
	v_mul_f16_e32 v34, 0x3853, v23
	v_fmamk_f16 v37, v12, 0xbbad, v13
	v_add_f16_e32 v25, v25, v28
	v_fma_f16 v13, v12, 0xbbad, -v13
	v_mul_f16_e32 v28, 0xba0c, v23
	v_add_f16_e32 v43, v43, v45
	v_add_f16_e32 v35, v41, v35
	;; [unrolled: 1-line block ×3, first 2 shown]
	v_fmamk_f16 v38, v12, 0x3abb, v34
	v_add_f16_e32 v29, v37, v29
	v_fma_f16 v34, v12, 0x3abb, -v34
	v_add_f16_e32 v13, v13, v26
	v_fmamk_f16 v26, v12, 0xb93d, v28
	v_mul_f16_e32 v37, 0x3b47, v23
	v_mul_f16_e32 v23, 0xbbeb, v23
	v_add_f16_e32 v36, v36, v43
	v_add_f16_e32 v31, v34, v31
	;; [unrolled: 1-line block ×3, first 2 shown]
	v_fma_f16 v28, v12, 0xb93d, -v28
	v_fmamk_f16 v34, v12, 0x36a6, v37
	v_fma_f16 v35, v12, 0x36a6, -v37
	v_fmamk_f16 v37, v12, 0xb08e, v23
	v_fma_f16 v12, v12, 0xb08e, -v23
	v_add_f16_e32 v36, v38, v36
	v_add_f16_e32 v23, v28, v33
	;; [unrolled: 1-line block ×6, first 2 shown]
	global_wb scope:SCOPE_SE
	s_wait_dscnt 0x0
	s_barrier_signal -1
	s_barrier_wait -1
	global_inv scope:SCOPE_SE
	ds_store_b16 v11, v32
	ds_store_b16 v11, v29 offset:34
	ds_store_b16 v11, v36 offset:68
	;; [unrolled: 1-line block ×10, first 2 shown]
	global_wb scope:SCOPE_SE
	s_wait_dscnt 0x0
	s_barrier_signal -1
	s_barrier_wait -1
	global_inv scope:SCOPE_SE
	ds_load_u16 v23, v8
	ds_load_u16 v29, v0 offset:1292
	ds_load_u16 v25, v0 offset:1122
	;; [unrolled: 1-line block ×9, first 2 shown]
	s_and_saveexec_b32 s1, s0
	s_cbranch_execz .LBB0_18
; %bb.17:
	ds_load_u16 v4, v0 offset:714
	ds_load_u16 v5, v0 offset:1462
	;; [unrolled: 1-line block ×3, first 2 shown]
	s_wait_dscnt 0x2
	ds_load_u16_d16_hi v4, v0 offset:1088
	s_wait_dscnt 0x2
	ds_load_u16_d16_hi v5, v0 offset:1836
.LBB0_18:
	s_wait_alu 0xfffe
	s_or_b32 exec_lo, exec_lo, s1
	s_and_saveexec_b32 s1, vcc_lo
	s_cbranch_execz .LBB0_21
; %bb.19:
	v_add_nc_u32_e32 v0, 0x55, v7
	s_delay_alu instid0(VALU_DEP_1) | instskip(SKIP_1) | instid1(VALU_DEP_2)
	v_dual_mov_b32 v12, 0 :: v_dual_lshlrev_b32 v11, 2, v0
	v_mul_hi_u32 v0, 0xaf3addc7, v0
	v_mov_b32_e32 v8, v12
	s_delay_alu instid0(VALU_DEP_3) | instskip(SKIP_1) | instid1(VALU_DEP_3)
	v_lshlrev_b64_e32 v[33:34], 2, v[11:12]
	v_lshlrev_b32_e32 v11, 2, v7
	v_lshlrev_b64_e32 v[41:42], 2, v[7:8]
	v_lshrrev_b32_e32 v0, 7, v0
	s_delay_alu instid0(VALU_DEP_3) | instskip(SKIP_4) | instid1(VALU_DEP_4)
	v_lshlrev_b64_e32 v[37:38], 2, v[11:12]
	v_add_co_u32 v33, vcc_lo, s4, v33
	s_wait_alu 0xfffd
	v_add_co_ci_u32_e32 v34, vcc_lo, s5, v34, vcc_lo
	v_mul_u32_u24_e32 v11, 0x2ec, v0
	v_add_co_u32 v37, vcc_lo, s4, v37
	global_load_b128 v[33:36], v[33:34], off offset:680
	s_wait_alu 0xfffd
	v_add_co_ci_u32_e32 v38, vcc_lo, s5, v38, vcc_lo
	v_add_co_u32 v8, vcc_lo, s8, v9
	s_wait_alu 0xfffd
	v_add_co_ci_u32_e32 v9, vcc_lo, s9, v10, vcc_lo
	global_load_b128 v[37:40], v[37:38], off offset:680
	v_add_co_u32 v8, vcc_lo, v8, v41
	s_wait_alu 0xfffd
	v_add_co_ci_u32_e32 v9, vcc_lo, v9, v42, vcc_lo
	v_lshlrev_b64_e32 v[10:11], 2, v[11:12]
	s_delay_alu instid0(VALU_DEP_1) | instskip(SKIP_1) | instid1(VALU_DEP_2)
	v_add_co_u32 v10, vcc_lo, v8, v10
	s_wait_alu 0xfffd
	v_add_co_ci_u32_e32 v11, vcc_lo, v9, v11, vcc_lo
	s_wait_loadcnt 0x1
	v_lshrrev_b32_e32 v0, 16, v33
	v_lshrrev_b32_e32 v41, 16, v34
	;; [unrolled: 1-line block ×4, first 2 shown]
	s_delay_alu instid0(VALU_DEP_4) | instskip(NEXT) | instid1(VALU_DEP_4)
	v_mul_f16_e32 v45, v21, v0
	v_mul_f16_e32 v44, v20, v41
	s_delay_alu instid0(VALU_DEP_4) | instskip(NEXT) | instid1(VALU_DEP_4)
	v_mul_f16_e32 v46, v19, v42
	v_mul_f16_e32 v47, v22, v43
	s_wait_dscnt 0x4
	v_mul_f16_e32 v0, v31, v0
	s_wait_dscnt 0x0
	v_mul_f16_e32 v43, v32, v43
	v_mul_f16_e32 v41, v30, v41
	s_wait_loadcnt 0x0
	v_lshrrev_b32_e32 v48, 16, v37
	v_lshrrev_b32_e32 v49, 16, v38
	;; [unrolled: 1-line block ×4, first 2 shown]
	v_mul_f16_e32 v42, v29, v42
	v_fmac_f16_e32 v44, v30, v34
	v_fmac_f16_e32 v45, v31, v33
	v_fmac_f16_e32 v46, v29, v35
	v_fmac_f16_e32 v47, v32, v36
	v_fma_f16 v0, v21, v33, -v0
	v_fma_f16 v21, v22, v36, -v43
	;; [unrolled: 1-line block ×3, first 2 shown]
	v_mul_f16_e32 v22, v16, v48
	v_mul_f16_e32 v29, v17, v49
	;; [unrolled: 1-line block ×6, first 2 shown]
	v_fma_f16 v19, v19, v35, -v42
	v_mul_f16_e32 v34, v27, v48
	v_mul_f16_e32 v35, v28, v51
	v_sub_f16_e32 v36, v44, v45
	v_sub_f16_e32 v41, v46, v47
	;; [unrolled: 1-line block ×4, first 2 shown]
	v_add_f16_e32 v51, v0, v21
	v_sub_f16_e32 v57, v0, v20
	v_add_f16_e32 v0, v14, v0
	v_fmac_f16_e32 v22, v27, v37
	v_fmac_f16_e32 v29, v26, v38
	;; [unrolled: 1-line block ×4, first 2 shown]
	v_fma_f16 v17, v17, v38, -v32
	v_fma_f16 v15, v15, v39, -v33
	v_add_f16_e32 v43, v45, v47
	v_sub_f16_e32 v50, v19, v21
	v_sub_f16_e32 v53, v45, v47
	;; [unrolled: 1-line block ×4, first 2 shown]
	v_add_f16_e32 v45, v24, v45
	v_fma_f16 v16, v16, v37, -v34
	v_fma_f16 v18, v18, v40, -v35
	v_sub_f16_e32 v48, v20, v19
	v_add_f16_e32 v59, v20, v19
	v_add_f16_e32 v25, v36, v41
	;; [unrolled: 1-line block ×3, first 2 shown]
	v_sub_f16_e32 v20, v22, v29
	v_sub_f16_e32 v35, v30, v31
	v_add_f16_e32 v38, v29, v31
	v_add_f16_e32 v41, v17, v15
	;; [unrolled: 1-line block ×8, first 2 shown]
	v_fma_f16 v26, -0.5, v43, v24
	v_fma_f16 v28, -0.5, v51, v14
	v_sub_f16_e32 v37, v16, v18
	v_sub_f16_e32 v39, v16, v17
	;; [unrolled: 1-line block ×5, first 2 shown]
	v_add_f16_e32 v22, v23, v22
	v_add_f16_e32 v16, v6, v16
	v_sub_f16_e32 v58, v21, v19
	v_add_f16_e32 v0, v0, v19
	v_add_f16_e32 v19, v20, v35
	v_fma_f16 v20, -0.5, v38, v23
	v_fma_f16 v38, -0.5, v41, v6
	v_sub_f16_e32 v52, v44, v46
	v_sub_f16_e32 v36, v17, v15
	;; [unrolled: 1-line block ×3, first 2 shown]
	v_add_f16_e32 v34, v46, v34
	v_fma_f16 v23, -0.5, v50, v23
	v_fma_f16 v6, -0.5, v55, v6
	;; [unrolled: 1-line block ×4, first 2 shown]
	v_add_f16_e32 v22, v22, v29
	v_add_f16_e32 v16, v16, v17
	v_sub_f16_e32 v40, v18, v15
	v_add_f16_e32 v0, v0, v21
	v_fmamk_f16 v21, v37, 0x3b9c, v20
	v_fmamk_f16 v29, v43, 0xbb9c, v38
	v_fmac_f16_e32 v20, 0xbb9c, v37
	v_fmac_f16_e32 v38, 0x3b9c, v43
	v_sub_f16_e32 v49, v31, v30
	v_sub_f16_e32 v54, v15, v18
	v_add_f16_e32 v17, v34, v47
	v_fmamk_f16 v34, v36, 0xbb9c, v23
	v_fmamk_f16 v41, v44, 0x3b9c, v6
	v_fmac_f16_e32 v23, 0x3b9c, v36
	v_fmac_f16_e32 v6, 0xbb9c, v44
	v_add_f16_e32 v33, v57, v58
	v_fmamk_f16 v56, v48, 0xbb9c, v26
	v_fmamk_f16 v57, v52, 0x3b9c, v28
	v_fmac_f16_e32 v26, 0x3b9c, v48
	v_fmac_f16_e32 v28, 0xbb9c, v52
	v_fmamk_f16 v58, v42, 0xbb9c, v24
	v_fmamk_f16 v59, v53, 0x3b9c, v14
	v_fmac_f16_e32 v24, 0x3b9c, v42
	v_fmac_f16_e32 v14, 0xbb9c, v53
	v_add_f16_e32 v22, v22, v31
	v_add_f16_e32 v15, v16, v15
	;; [unrolled: 1-line block ×3, first 2 shown]
	v_fmac_f16_e32 v20, 0xb8b4, v36
	v_fmac_f16_e32 v38, 0x38b4, v44
	v_add_f16_e32 v39, v45, v49
	v_add_f16_e32 v40, v51, v54
	v_fmac_f16_e32 v23, 0xb8b4, v37
	v_fmac_f16_e32 v6, 0x38b4, v43
	;; [unrolled: 1-line block ×14, first 2 shown]
	v_add_f16_e32 v16, v30, v22
	v_add_f16_e32 v15, v18, v15
	v_fmac_f16_e32 v20, 0x34f2, v19
	v_fmac_f16_e32 v38, 0x34f2, v35
	;; [unrolled: 1-line block ×16, first 2 shown]
	v_pack_b32_f16 v15, v15, v16
	v_pack_b32_f16 v19, v38, v20
	v_pack_b32_f16 v6, v6, v23
	v_pack_b32_f16 v20, v41, v34
	v_pack_b32_f16 v21, v29, v21
	v_pack_b32_f16 v0, v0, v17
	v_pack_b32_f16 v16, v59, v58
	v_pack_b32_f16 v17, v28, v26
	v_pack_b32_f16 v18, v57, v56
	v_pack_b32_f16 v14, v14, v24
	s_clause 0x9
	global_store_b32 v[8:9], v15, off
	global_store_b32 v[8:9], v19, off offset:748
	global_store_b32 v[8:9], v6, off offset:1496
	;; [unrolled: 1-line block ×9, first 2 shown]
	s_and_b32 exec_lo, exec_lo, s0
	s_cbranch_execz .LBB0_21
; %bb.20:
	v_mov_b32_e32 v0, 0xaa
	s_delay_alu instid0(VALU_DEP_1) | instskip(NEXT) | instid1(VALU_DEP_1)
	v_cndmask_b32_e64 v0, 0xffffffef, v0, s0
	v_add_lshl_u32 v11, v7, v0, 2
	v_lshrrev_b32_e32 v0, 16, v1
	s_delay_alu instid0(VALU_DEP_2) | instskip(SKIP_1) | instid1(VALU_DEP_2)
	v_lshlrev_b64_e32 v[6:7], 2, v[11:12]
	v_lshrrev_b32_e32 v11, 16, v5
	v_add_co_u32 v6, vcc_lo, s4, v6
	s_wait_alu 0xfffd
	s_delay_alu instid0(VALU_DEP_3)
	v_add_co_ci_u32_e32 v7, vcc_lo, s5, v7, vcc_lo
	global_load_b128 v[14:17], v[6:7], off offset:680
	v_lshrrev_b32_e32 v6, 16, v4
	v_lshrrev_b32_e32 v7, 16, v2
	s_wait_loadcnt 0x0
	v_lshrrev_b32_e32 v10, 16, v14
	v_lshrrev_b32_e32 v12, 16, v15
	;; [unrolled: 1-line block ×4, first 2 shown]
	s_delay_alu instid0(VALU_DEP_4)
	v_mul_f16_e32 v20, v4, v10
	v_mul_f16_e32 v10, v1, v10
	;; [unrolled: 1-line block ×8, first 2 shown]
	v_fma_f16 v1, v1, v14, -v20
	v_fmac_f16_e32 v10, v4, v14
	v_fma_f16 v0, v0, v15, -v21
	v_fmac_f16_e32 v12, v6, v15
	;; [unrolled: 2-line block ×4, first 2 shown]
	v_add_f16_e32 v5, v3, v1
	v_add_f16_e32 v6, v0, v2
	v_sub_f16_e32 v14, v1, v0
	v_sub_f16_e32 v15, v4, v2
	v_add_f16_e32 v21, v13, v10
	v_add_f16_e32 v22, v12, v18
	v_add_f16_e32 v16, v1, v4
	v_add_f16_e32 v26, v10, v19
	v_sub_f16_e32 v7, v10, v19
	v_sub_f16_e32 v11, v12, v18
	;; [unrolled: 1-line block ×7, first 2 shown]
	v_add_f16_e32 v0, v5, v0
	v_fma_f16 v5, -0.5, v6, v3
	v_add_f16_e32 v6, v14, v15
	v_add_f16_e32 v12, v21, v12
	v_fma_f16 v15, -0.5, v22, v13
	v_sub_f16_e32 v20, v2, v4
	v_fmac_f16_e32 v3, -0.5, v16
	v_fmac_f16_e32 v13, -0.5, v26
	v_sub_f16_e32 v25, v19, v18
	v_sub_f16_e32 v27, v18, v19
	v_add_f16_e32 v0, v0, v2
	v_fmamk_f16 v2, v7, 0x3b9c, v5
	v_add_f16_e32 v12, v12, v18
	v_fmamk_f16 v18, v1, 0xbb9c, v15
	;; [unrolled: 2-line block ×3, first 2 shown]
	v_fmamk_f16 v20, v23, 0x3b9c, v13
	v_fmac_f16_e32 v3, 0x3b9c, v11
	v_fmac_f16_e32 v13, 0xbb9c, v23
	;; [unrolled: 1-line block ×4, first 2 shown]
	v_add_f16_e32 v16, v24, v25
	v_fmac_f16_e32 v2, 0x38b4, v11
	v_fmac_f16_e32 v18, 0xb8b4, v23
	v_add_f16_e32 v10, v10, v27
	v_fmac_f16_e32 v17, 0x38b4, v7
	v_fmac_f16_e32 v20, 0xb8b4, v1
	v_fmac_f16_e32 v3, 0xb8b4, v7
	v_fmac_f16_e32 v13, 0x38b4, v1
	v_fmac_f16_e32 v5, 0xb8b4, v11
	v_fmac_f16_e32 v15, 0x38b4, v23
	v_add_f16_e32 v0, v0, v4
	v_add_f16_e32 v4, v12, v19
	v_fmac_f16_e32 v2, 0x34f2, v6
	v_fmac_f16_e32 v18, 0x34f2, v16
	;; [unrolled: 1-line block ×8, first 2 shown]
	v_pack_b32_f16 v0, v0, v4
	v_pack_b32_f16 v1, v2, v18
	;; [unrolled: 1-line block ×5, first 2 shown]
	s_clause 0x4
	global_store_b32 v[8:9], v0, off offset:680
	global_store_b32 v[8:9], v1, off offset:1428
	;; [unrolled: 1-line block ×5, first 2 shown]
.LBB0_21:
	s_nop 0
	s_sendmsg sendmsg(MSG_DEALLOC_VGPRS)
	s_endpgm
	.section	.rodata,"a",@progbits
	.p2align	6, 0x0
	.amdhsa_kernel fft_rtc_fwd_len935_factors_17_11_5_wgs_255_tpt_85_halfLds_half_ip_CI_unitstride_sbrr_dirReg
		.amdhsa_group_segment_fixed_size 0
		.amdhsa_private_segment_fixed_size 0
		.amdhsa_kernarg_size 88
		.amdhsa_user_sgpr_count 2
		.amdhsa_user_sgpr_dispatch_ptr 0
		.amdhsa_user_sgpr_queue_ptr 0
		.amdhsa_user_sgpr_kernarg_segment_ptr 1
		.amdhsa_user_sgpr_dispatch_id 0
		.amdhsa_user_sgpr_private_segment_size 0
		.amdhsa_wavefront_size32 1
		.amdhsa_uses_dynamic_stack 0
		.amdhsa_enable_private_segment 0
		.amdhsa_system_sgpr_workgroup_id_x 1
		.amdhsa_system_sgpr_workgroup_id_y 0
		.amdhsa_system_sgpr_workgroup_id_z 0
		.amdhsa_system_sgpr_workgroup_info 0
		.amdhsa_system_vgpr_workitem_id 0
		.amdhsa_next_free_vgpr 98
		.amdhsa_next_free_sgpr 32
		.amdhsa_reserve_vcc 1
		.amdhsa_float_round_mode_32 0
		.amdhsa_float_round_mode_16_64 0
		.amdhsa_float_denorm_mode_32 3
		.amdhsa_float_denorm_mode_16_64 3
		.amdhsa_fp16_overflow 0
		.amdhsa_workgroup_processor_mode 1
		.amdhsa_memory_ordered 1
		.amdhsa_forward_progress 0
		.amdhsa_round_robin_scheduling 0
		.amdhsa_exception_fp_ieee_invalid_op 0
		.amdhsa_exception_fp_denorm_src 0
		.amdhsa_exception_fp_ieee_div_zero 0
		.amdhsa_exception_fp_ieee_overflow 0
		.amdhsa_exception_fp_ieee_underflow 0
		.amdhsa_exception_fp_ieee_inexact 0
		.amdhsa_exception_int_div_zero 0
	.end_amdhsa_kernel
	.text
.Lfunc_end0:
	.size	fft_rtc_fwd_len935_factors_17_11_5_wgs_255_tpt_85_halfLds_half_ip_CI_unitstride_sbrr_dirReg, .Lfunc_end0-fft_rtc_fwd_len935_factors_17_11_5_wgs_255_tpt_85_halfLds_half_ip_CI_unitstride_sbrr_dirReg
                                        ; -- End function
	.section	.AMDGPU.csdata,"",@progbits
; Kernel info:
; codeLenInByte = 11260
; NumSgprs: 34
; NumVgprs: 98
; ScratchSize: 0
; MemoryBound: 0
; FloatMode: 240
; IeeeMode: 1
; LDSByteSize: 0 bytes/workgroup (compile time only)
; SGPRBlocks: 4
; VGPRBlocks: 12
; NumSGPRsForWavesPerEU: 34
; NumVGPRsForWavesPerEU: 98
; Occupancy: 12
; WaveLimiterHint : 1
; COMPUTE_PGM_RSRC2:SCRATCH_EN: 0
; COMPUTE_PGM_RSRC2:USER_SGPR: 2
; COMPUTE_PGM_RSRC2:TRAP_HANDLER: 0
; COMPUTE_PGM_RSRC2:TGID_X_EN: 1
; COMPUTE_PGM_RSRC2:TGID_Y_EN: 0
; COMPUTE_PGM_RSRC2:TGID_Z_EN: 0
; COMPUTE_PGM_RSRC2:TIDIG_COMP_CNT: 0
	.text
	.p2alignl 7, 3214868480
	.fill 96, 4, 3214868480
	.type	__hip_cuid_47e5bb66458355ef,@object ; @__hip_cuid_47e5bb66458355ef
	.section	.bss,"aw",@nobits
	.globl	__hip_cuid_47e5bb66458355ef
__hip_cuid_47e5bb66458355ef:
	.byte	0                               ; 0x0
	.size	__hip_cuid_47e5bb66458355ef, 1

	.ident	"AMD clang version 19.0.0git (https://github.com/RadeonOpenCompute/llvm-project roc-6.4.0 25133 c7fe45cf4b819c5991fe208aaa96edf142730f1d)"
	.section	".note.GNU-stack","",@progbits
	.addrsig
	.addrsig_sym __hip_cuid_47e5bb66458355ef
	.amdgpu_metadata
---
amdhsa.kernels:
  - .args:
      - .actual_access:  read_only
        .address_space:  global
        .offset:         0
        .size:           8
        .value_kind:     global_buffer
      - .offset:         8
        .size:           8
        .value_kind:     by_value
      - .actual_access:  read_only
        .address_space:  global
        .offset:         16
        .size:           8
        .value_kind:     global_buffer
      - .actual_access:  read_only
        .address_space:  global
        .offset:         24
        .size:           8
        .value_kind:     global_buffer
      - .offset:         32
        .size:           8
        .value_kind:     by_value
      - .actual_access:  read_only
        .address_space:  global
        .offset:         40
        .size:           8
        .value_kind:     global_buffer
      - .actual_access:  read_only
        .address_space:  global
        .offset:         48
        .size:           8
        .value_kind:     global_buffer
      - .offset:         56
        .size:           4
        .value_kind:     by_value
      - .actual_access:  read_only
        .address_space:  global
        .offset:         64
        .size:           8
        .value_kind:     global_buffer
      - .actual_access:  read_only
        .address_space:  global
        .offset:         72
        .size:           8
        .value_kind:     global_buffer
      - .address_space:  global
        .offset:         80
        .size:           8
        .value_kind:     global_buffer
    .group_segment_fixed_size: 0
    .kernarg_segment_align: 8
    .kernarg_segment_size: 88
    .language:       OpenCL C
    .language_version:
      - 2
      - 0
    .max_flat_workgroup_size: 255
    .name:           fft_rtc_fwd_len935_factors_17_11_5_wgs_255_tpt_85_halfLds_half_ip_CI_unitstride_sbrr_dirReg
    .private_segment_fixed_size: 0
    .sgpr_count:     34
    .sgpr_spill_count: 0
    .symbol:         fft_rtc_fwd_len935_factors_17_11_5_wgs_255_tpt_85_halfLds_half_ip_CI_unitstride_sbrr_dirReg.kd
    .uniform_work_group_size: 1
    .uses_dynamic_stack: false
    .vgpr_count:     98
    .vgpr_spill_count: 0
    .wavefront_size: 32
    .workgroup_processor_mode: 1
amdhsa.target:   amdgcn-amd-amdhsa--gfx1201
amdhsa.version:
  - 1
  - 2
...

	.end_amdgpu_metadata
